;; amdgpu-corpus repo=ROCm/rocFFT kind=compiled arch=gfx906 opt=O3
	.text
	.amdgcn_target "amdgcn-amd-amdhsa--gfx906"
	.amdhsa_code_object_version 6
	.protected	fft_rtc_fwd_len336_factors_6_7_8_wgs_336_tpt_56_dp_op_CI_CI_sbcc_twdbase5_3step_dirReg_intrinsicReadWrite ; -- Begin function fft_rtc_fwd_len336_factors_6_7_8_wgs_336_tpt_56_dp_op_CI_CI_sbcc_twdbase5_3step_dirReg_intrinsicReadWrite
	.globl	fft_rtc_fwd_len336_factors_6_7_8_wgs_336_tpt_56_dp_op_CI_CI_sbcc_twdbase5_3step_dirReg_intrinsicReadWrite
	.p2align	8
	.type	fft_rtc_fwd_len336_factors_6_7_8_wgs_336_tpt_56_dp_op_CI_CI_sbcc_twdbase5_3step_dirReg_intrinsicReadWrite,@function
fft_rtc_fwd_len336_factors_6_7_8_wgs_336_tpt_56_dp_op_CI_CI_sbcc_twdbase5_3step_dirReg_intrinsicReadWrite: ; @fft_rtc_fwd_len336_factors_6_7_8_wgs_336_tpt_56_dp_op_CI_CI_sbcc_twdbase5_3step_dirReg_intrinsicReadWrite
; %bb.0:
	s_load_dwordx8 s[8:15], s[4:5], 0x8
	s_load_dwordx2 s[2:3], s[4:5], 0x28
	s_movk_i32 s0, 0x60
	v_cmp_gt_u32_e32 vcc, s0, v0
	s_and_saveexec_b64 s[0:1], vcc
	s_cbranch_execz .LBB0_2
; %bb.1:
	v_lshlrev_b32_e32 v5, 4, v0
	s_waitcnt lgkmcnt(0)
	global_load_dwordx4 v[1:4], v5, s[8:9]
	v_add_u32_e32 v5, 0, v5
	v_add_u32_e32 v5, 0x7e00, v5
	s_waitcnt vmcnt(0)
	ds_write2_b64 v5, v[1:2], v[3:4] offset1:1
.LBB0_2:
	s_or_b64 exec, exec, s[0:1]
	s_waitcnt lgkmcnt(0)
	s_load_dwordx2 s[30:31], s[12:13], 0x8
	s_mov_b32 s7, 0
	s_mov_b64 s[28:29], 0
	s_waitcnt lgkmcnt(0)
	s_add_u32 s0, s30, -1
	s_addc_u32 s1, s31, -1
	s_add_u32 s8, 0, 0xaaa80000
	s_addc_u32 s9, 0, 0xaa
	s_mul_hi_u32 s17, s8, -6
	s_add_i32 s9, s9, 0x2aaaaa00
	s_sub_i32 s17, s17, s8
	s_mul_i32 s20, s9, -6
	s_mul_i32 s16, s8, -6
	s_add_i32 s17, s17, s20
	s_mul_hi_u32 s18, s9, s16
	s_mul_i32 s19, s9, s16
	s_mul_i32 s21, s8, s17
	s_mul_hi_u32 s16, s8, s16
	s_mul_hi_u32 s20, s8, s17
	s_add_u32 s16, s16, s21
	s_addc_u32 s20, 0, s20
	s_add_u32 s16, s16, s19
	s_mul_hi_u32 s21, s9, s17
	s_addc_u32 s16, s20, s18
	s_addc_u32 s18, s21, 0
	s_mul_i32 s17, s9, s17
	s_add_u32 s16, s16, s17
	v_mov_b32_e32 v1, s16
	s_addc_u32 s17, 0, s18
	v_add_co_u32_e32 v1, vcc, s8, v1
	s_cmp_lg_u64 vcc, 0
	s_addc_u32 s8, s9, s17
	v_readfirstlane_b32 s17, v1
	s_mul_i32 s16, s0, s8
	s_mul_hi_u32 s18, s0, s17
	s_mul_hi_u32 s9, s0, s8
	s_add_u32 s16, s18, s16
	s_addc_u32 s9, 0, s9
	s_mul_hi_u32 s19, s1, s17
	s_mul_i32 s17, s1, s17
	s_add_u32 s16, s16, s17
	s_mul_hi_u32 s18, s1, s8
	s_addc_u32 s9, s9, s19
	s_addc_u32 s16, s18, 0
	s_mul_i32 s8, s1, s8
	s_add_u32 s8, s9, s8
	s_addc_u32 s9, 0, s16
	s_add_u32 s16, s8, 1
	s_addc_u32 s17, s9, 0
	s_add_u32 s18, s8, 2
	s_mul_i32 s20, s9, 6
	s_mul_hi_u32 s21, s8, 6
	s_addc_u32 s19, s9, 0
	s_add_i32 s21, s21, s20
	s_mul_i32 s20, s8, 6
	v_mov_b32_e32 v1, s20
	v_sub_co_u32_e32 v1, vcc, s0, v1
	s_cmp_lg_u64 vcc, 0
	s_subb_u32 s0, s1, s21
	v_subrev_co_u32_e32 v2, vcc, 6, v1
	s_cmp_lg_u64 vcc, 0
	s_subb_u32 s1, s0, 0
	v_readfirstlane_b32 s20, v2
	s_cmp_gt_u32 s20, 5
	s_cselect_b32 s20, -1, 0
	s_cmp_eq_u32 s1, 0
	s_cselect_b32 s1, s20, -1
	s_cmp_lg_u32 s1, 0
	s_cselect_b32 s1, s18, s16
	s_cselect_b32 s16, s19, s17
	v_readfirstlane_b32 s17, v1
	s_cmp_gt_u32 s17, 5
	s_cselect_b32 s17, -1, 0
	s_cmp_eq_u32 s0, 0
	s_cselect_b32 s0, s17, -1
	s_cmp_lg_u32 s0, 0
	s_cselect_b32 s1, s1, s8
	s_cselect_b32 s0, s16, s9
	s_add_u32 s34, s1, 1
	s_addc_u32 s35, s0, 0
	v_mov_b32_e32 v1, s34
	v_mov_b32_e32 v2, s35
	v_cmp_lt_u64_e32 vcc, s[6:7], v[1:2]
	s_cbranch_vccnz .LBB0_4
; %bb.3:
	v_cvt_f32_u32_e32 v1, s34
	s_sub_i32 s0, 0, s34
	s_mov_b32 s29, s7
	v_rcp_iflag_f32_e32 v1, v1
	v_mul_f32_e32 v1, 0x4f7ffffe, v1
	v_cvt_u32_f32_e32 v1, v1
	v_readfirstlane_b32 s1, v1
	s_mul_i32 s0, s0, s1
	s_mul_hi_u32 s0, s1, s0
	s_add_i32 s1, s1, s0
	s_mul_hi_u32 s0, s6, s1
	s_mul_i32 s8, s0, s34
	s_sub_i32 s8, s6, s8
	s_add_i32 s1, s0, 1
	s_sub_i32 s9, s8, s34
	s_cmp_ge_u32 s8, s34
	s_cselect_b32 s0, s1, s0
	s_cselect_b32 s8, s9, s8
	s_add_i32 s1, s0, 1
	s_cmp_ge_u32 s8, s34
	s_cselect_b32 s28, s1, s0
.LBB0_4:
	s_mul_i32 s0, s28, s35
	s_mul_hi_u32 s1, s28, s34
	s_add_i32 s1, s1, s0
	s_mul_i32 s0, s28, s34
	s_load_dwordx4 s[20:23], s[4:5], 0x60
	s_load_dwordx2 s[8:9], s[4:5], 0x0
	s_load_dwordx4 s[24:27], s[14:15], 0x0
	s_load_dwordx4 s[16:19], s[2:3], 0x0
	s_sub_u32 s33, s6, s0
	s_subb_u32 s0, 0, s1
	s_mul_i32 s0, s0, 6
	s_waitcnt lgkmcnt(0)
	s_mul_hi_u32 s25, s33, 6
	s_add_i32 s25, s25, s0
	s_mul_i32 s33, s33, 6
	s_mul_i32 s0, s26, s25
	s_mul_hi_u32 s1, s26, s33
	s_add_i32 s0, s1, s0
	s_mul_i32 s1, s27, s33
	s_add_i32 s46, s0, s1
	s_mul_i32 s0, s18, s25
	s_mul_hi_u32 s1, s18, s33
	s_add_i32 s0, s1, s0
	s_mul_i32 s1, s19, s33
	s_add_i32 s19, s0, s1
	v_cmp_lt_u64_e64 s[0:1], s[10:11], 3
	s_mul_i32 s27, s26, s33
	s_mul_i32 s17, s18, s33
	s_and_b64 vcc, exec, s[0:1]
	s_cbranch_vccnz .LBB0_14
; %bb.5:
	s_add_u32 s4, s2, 16
	s_addc_u32 s5, s3, 0
	s_add_u32 s36, s14, 16
	s_addc_u32 s37, s15, 0
	s_add_u32 s12, s12, 16
	v_mov_b32_e32 v1, s10
	s_addc_u32 s13, s13, 0
	s_mov_b64 s[38:39], 2
	s_mov_b32 s40, 0
	v_mov_b32_e32 v2, s11
.LBB0_6:                                ; =>This Inner Loop Header: Depth=1
	s_load_dwordx2 s[42:43], s[12:13], 0x0
	s_waitcnt lgkmcnt(0)
	s_or_b64 s[0:1], s[28:29], s[42:43]
	s_mov_b32 s41, s1
	s_cmp_lg_u64 s[40:41], 0
	s_cbranch_scc0 .LBB0_11
; %bb.7:                                ;   in Loop: Header=BB0_6 Depth=1
	v_cvt_f32_u32_e32 v3, s42
	v_cvt_f32_u32_e32 v4, s43
	s_sub_u32 s0, 0, s42
	s_subb_u32 s1, 0, s43
	v_mac_f32_e32 v3, 0x4f800000, v4
	v_rcp_f32_e32 v3, v3
	v_mul_f32_e32 v3, 0x5f7ffffc, v3
	v_mul_f32_e32 v4, 0x2f800000, v3
	v_trunc_f32_e32 v4, v4
	v_mac_f32_e32 v3, 0xcf800000, v4
	v_cvt_u32_f32_e32 v4, v4
	v_cvt_u32_f32_e32 v3, v3
	v_readfirstlane_b32 s41, v4
	v_readfirstlane_b32 s44, v3
	s_mul_i32 s45, s0, s41
	s_mul_hi_u32 s48, s0, s44
	s_mul_i32 s47, s1, s44
	s_add_i32 s45, s48, s45
	s_mul_i32 s49, s0, s44
	s_add_i32 s45, s45, s47
	s_mul_hi_u32 s47, s44, s45
	s_mul_i32 s48, s44, s45
	s_mul_hi_u32 s44, s44, s49
	s_add_u32 s44, s44, s48
	s_addc_u32 s47, 0, s47
	s_mul_hi_u32 s50, s41, s49
	s_mul_i32 s49, s41, s49
	s_add_u32 s44, s44, s49
	s_mul_hi_u32 s48, s41, s45
	s_addc_u32 s44, s47, s50
	s_addc_u32 s47, s48, 0
	s_mul_i32 s45, s41, s45
	s_add_u32 s44, s44, s45
	s_addc_u32 s45, 0, s47
	v_add_co_u32_e32 v3, vcc, s44, v3
	s_cmp_lg_u64 vcc, 0
	s_addc_u32 s41, s41, s45
	v_readfirstlane_b32 s45, v3
	s_mul_i32 s44, s0, s41
	s_mul_hi_u32 s47, s0, s45
	s_add_i32 s44, s47, s44
	s_mul_i32 s1, s1, s45
	s_add_i32 s44, s44, s1
	s_mul_i32 s0, s0, s45
	s_mul_hi_u32 s47, s41, s0
	s_mul_i32 s48, s41, s0
	s_mul_i32 s50, s45, s44
	s_mul_hi_u32 s0, s45, s0
	s_mul_hi_u32 s49, s45, s44
	s_add_u32 s0, s0, s50
	s_addc_u32 s45, 0, s49
	s_add_u32 s0, s0, s48
	s_mul_hi_u32 s1, s41, s44
	s_addc_u32 s0, s45, s47
	s_addc_u32 s1, s1, 0
	s_mul_i32 s44, s41, s44
	s_add_u32 s0, s0, s44
	s_addc_u32 s1, 0, s1
	v_add_co_u32_e32 v3, vcc, s0, v3
	s_cmp_lg_u64 vcc, 0
	s_addc_u32 s0, s41, s1
	v_readfirstlane_b32 s44, v3
	s_mul_i32 s41, s28, s0
	s_mul_hi_u32 s45, s28, s44
	s_mul_hi_u32 s1, s28, s0
	s_add_u32 s41, s45, s41
	s_addc_u32 s1, 0, s1
	s_mul_hi_u32 s47, s29, s44
	s_mul_i32 s44, s29, s44
	s_add_u32 s41, s41, s44
	s_mul_hi_u32 s45, s29, s0
	s_addc_u32 s1, s1, s47
	s_addc_u32 s41, s45, 0
	s_mul_i32 s0, s29, s0
	s_add_u32 s44, s1, s0
	s_addc_u32 s41, 0, s41
	s_mul_i32 s0, s42, s41
	s_mul_hi_u32 s1, s42, s44
	s_add_i32 s0, s1, s0
	s_mul_i32 s1, s43, s44
	s_add_i32 s45, s0, s1
	s_mul_i32 s1, s42, s44
	v_mov_b32_e32 v3, s1
	s_sub_i32 s0, s29, s45
	v_sub_co_u32_e32 v3, vcc, s28, v3
	s_cmp_lg_u64 vcc, 0
	s_subb_u32 s47, s0, s43
	v_subrev_co_u32_e64 v4, s[0:1], s42, v3
	s_cmp_lg_u64 s[0:1], 0
	s_subb_u32 s0, s47, 0
	s_cmp_ge_u32 s0, s43
	v_readfirstlane_b32 s47, v4
	s_cselect_b32 s1, -1, 0
	s_cmp_ge_u32 s47, s42
	s_cselect_b32 s47, -1, 0
	s_cmp_eq_u32 s0, s43
	s_cselect_b32 s0, s47, s1
	s_add_u32 s1, s44, 1
	s_addc_u32 s47, s41, 0
	s_add_u32 s48, s44, 2
	s_addc_u32 s49, s41, 0
	s_cmp_lg_u32 s0, 0
	s_cselect_b32 s0, s48, s1
	s_cselect_b32 s1, s49, s47
	s_cmp_lg_u64 vcc, 0
	s_subb_u32 s45, s29, s45
	s_cmp_ge_u32 s45, s43
	v_readfirstlane_b32 s48, v3
	s_cselect_b32 s47, -1, 0
	s_cmp_ge_u32 s48, s42
	s_cselect_b32 s48, -1, 0
	s_cmp_eq_u32 s45, s43
	s_cselect_b32 s45, s48, s47
	s_cmp_lg_u32 s45, 0
	s_cselect_b32 s1, s1, s41
	s_cselect_b32 s0, s0, s44
	s_cbranch_execnz .LBB0_9
.LBB0_8:                                ;   in Loop: Header=BB0_6 Depth=1
	v_cvt_f32_u32_e32 v3, s42
	s_sub_i32 s0, 0, s42
	v_rcp_iflag_f32_e32 v3, v3
	v_mul_f32_e32 v3, 0x4f7ffffe, v3
	v_cvt_u32_f32_e32 v3, v3
	v_readfirstlane_b32 s1, v3
	s_mul_i32 s0, s0, s1
	s_mul_hi_u32 s0, s1, s0
	s_add_i32 s1, s1, s0
	s_mul_hi_u32 s0, s28, s1
	s_mul_i32 s41, s0, s42
	s_sub_i32 s41, s28, s41
	s_add_i32 s1, s0, 1
	s_sub_i32 s44, s41, s42
	s_cmp_ge_u32 s41, s42
	s_cselect_b32 s0, s1, s0
	s_cselect_b32 s41, s44, s41
	s_add_i32 s1, s0, 1
	s_cmp_ge_u32 s41, s42
	s_cselect_b32 s0, s1, s0
	s_mov_b32 s1, s40
.LBB0_9:                                ;   in Loop: Header=BB0_6 Depth=1
	s_mul_i32 s35, s42, s35
	s_mul_hi_u32 s41, s42, s34
	s_add_i32 s35, s41, s35
	s_mul_i32 s41, s43, s34
	s_add_i32 s35, s35, s41
	s_mul_i32 s41, s0, s43
	s_mul_hi_u32 s43, s0, s42
	s_load_dwordx2 s[44:45], s[36:37], 0x0
	s_add_i32 s41, s43, s41
	s_mul_i32 s43, s1, s42
	s_mul_i32 s34, s42, s34
	s_add_i32 s41, s41, s43
	s_mul_i32 s42, s0, s42
	s_sub_u32 s42, s28, s42
	s_subb_u32 s41, s29, s41
	s_waitcnt lgkmcnt(0)
	s_mul_i32 s28, s44, s41
	s_mul_hi_u32 s29, s44, s42
	s_add_i32 s43, s29, s28
	s_load_dwordx2 s[28:29], s[4:5], 0x0
	s_mul_i32 s45, s45, s42
	s_add_i32 s43, s43, s45
	s_mul_i32 s44, s44, s42
	s_add_u32 s27, s44, s27
	s_addc_u32 s46, s43, s46
	s_waitcnt lgkmcnt(0)
	s_mul_i32 s41, s28, s41
	s_mul_hi_u32 s43, s28, s42
	s_add_i32 s41, s43, s41
	s_mul_i32 s29, s29, s42
	s_add_i32 s41, s41, s29
	s_mul_i32 s28, s28, s42
	s_add_u32 s17, s28, s17
	s_addc_u32 s19, s41, s19
	s_add_u32 s38, s38, 1
	s_addc_u32 s39, s39, 0
	;; [unrolled: 2-line block ×4, first 2 shown]
	v_cmp_ge_u64_e32 vcc, s[38:39], v[1:2]
	s_add_u32 s12, s12, 8
	s_addc_u32 s13, s13, 0
	s_cbranch_vccnz .LBB0_12
; %bb.10:                               ;   in Loop: Header=BB0_6 Depth=1
	s_mov_b64 s[28:29], s[0:1]
	s_branch .LBB0_6
.LBB0_11:                               ;   in Loop: Header=BB0_6 Depth=1
                                        ; implicit-def: $sgpr0_sgpr1
	s_branch .LBB0_8
.LBB0_12:
	v_mov_b32_e32 v1, s34
	v_mov_b32_e32 v2, s35
	v_cmp_lt_u64_e32 vcc, s[6:7], v[1:2]
	s_mov_b64 s[28:29], 0
	s_cbranch_vccnz .LBB0_14
; %bb.13:
	v_cvt_f32_u32_e32 v1, s34
	s_sub_i32 s0, 0, s34
	v_rcp_iflag_f32_e32 v1, v1
	v_mul_f32_e32 v1, 0x4f7ffffe, v1
	v_cvt_u32_f32_e32 v1, v1
	v_readfirstlane_b32 s1, v1
	s_mul_i32 s0, s0, s1
	s_mul_hi_u32 s0, s1, s0
	s_add_i32 s1, s1, s0
	s_mul_hi_u32 s0, s6, s1
	s_mul_i32 s4, s0, s34
	s_sub_i32 s4, s6, s4
	s_add_i32 s1, s0, 1
	s_sub_i32 s5, s4, s34
	s_cmp_ge_u32 s4, s34
	s_cselect_b32 s0, s1, s0
	s_cselect_b32 s4, s5, s4
	s_add_i32 s1, s0, 1
	s_cmp_ge_u32 s4, s34
	s_cselect_b32 s28, s1, s0
.LBB0_14:
	s_lshl_b64 s[0:1], s[10:11], 3
	s_add_u32 s4, s14, s0
	s_addc_u32 s5, s15, s1
	s_load_dword s4, s[4:5], 0x0
	s_mov_b32 s12, 0x2aaaaaab
	v_mul_hi_u32 v35, v0, s12
	s_mov_b32 s7, 0x20000
	s_mov_b32 s6, -2
	s_waitcnt lgkmcnt(0)
	s_mul_i32 s4, s4, s28
	v_mul_u32_u24_e32 v1, 6, v35
	s_add_i32 s4, s4, s27
	v_sub_u32_e32 v44, v0, v1
	s_add_u32 s10, s2, s0
	s_addc_u32 s11, s3, s1
	v_mov_b32_e32 v1, s25
	v_add_co_u32_e32 v33, vcc, s33, v44
	v_addc_co_u32_e32 v34, vcc, 0, v1, vcc
	s_add_u32 s0, s33, 6
	v_mul_lo_u32 v21, s26, v44
	v_mul_lo_u32 v3, s24, v35
	v_mov_b32_e32 v1, s30
	s_addc_u32 s1, s25, 0
	v_mov_b32_e32 v2, s31
	v_cmp_le_u64_e64 s[0:1], s[0:1], v[1:2]
	v_cmp_gt_u64_e32 vcc, s[30:31], v[33:34]
	v_add_lshl_u32 v1, v21, v3, 4
	s_or_b64 s[2:3], s[0:1], vcc
	v_cndmask_b32_e64 v13, -1, v1, s[2:3]
	v_add_u32_e32 v1, 0x70, v35
	v_mul_lo_u32 v1, s24, v1
	v_add_u32_e32 v2, 0xa8, v35
	v_add_u32_e32 v4, 0x118, v35
	v_mul_lo_u32 v2, s24, v2
	v_mul_lo_u32 v4, s24, v4
	v_add_lshl_u32 v1, v21, v1, 4
	v_cndmask_b32_e64 v14, -1, v1, s[2:3]
	v_add_u32_e32 v1, 56, v35
	s_lshl_b32 s13, s4, 4
	s_mov_b32 s4, s20
	s_mov_b32 s5, s21
	v_add_u32_e32 v3, 0xe0, v35
	v_mul_lo_u32 v22, s24, v1
	v_add_lshl_u32 v1, v21, v2, 4
	v_add_lshl_u32 v2, v21, v4, 4
	v_mul_lo_u32 v15, s24, v3
	v_cndmask_b32_e64 v16, -1, v1, s[2:3]
	v_cndmask_b32_e64 v17, -1, v2, s[2:3]
	buffer_load_dwordx4 v[1:4], v14, s[4:7], s13 offen
	buffer_load_dwordx4 v[5:8], v16, s[4:7], s13 offen
	;; [unrolled: 1-line block ×3, first 2 shown]
	v_add_lshl_u32 v17, v21, v15, 4
	v_add_lshl_u32 v21, v21, v22, 4
	v_cndmask_b32_e64 v21, -1, v21, s[2:3]
	buffer_load_dwordx4 v[13:16], v13, s[4:7], s13 offen
	v_cndmask_b32_e64 v17, -1, v17, s[2:3]
	buffer_load_dwordx4 v[17:20], v17, s[4:7], s13 offen
	s_movk_i32 s2, 0x120
	buffer_load_dwordx4 v[21:24], v21, s[4:7], s13 offen
	s_mov_b32 s4, 0xe8584caa
	s_mov_b32 s5, 0x3febb67a
	;; [unrolled: 1-line block ×4, first 2 shown]
	s_movk_i32 s13, 0x240
	v_mad_u32_u24 v25, v35, s13, 0
	v_cmp_gt_u32_e64 s[2:3], s2, v0
	s_waitcnt vmcnt(3)
	v_add_f64 v[26:27], v[7:8], v[11:12]
	v_add_f64 v[28:29], v[5:6], v[9:10]
	v_add_f64 v[42:43], v[7:8], -v[11:12]
	v_add_f64 v[45:46], v[5:6], -v[9:10]
	s_waitcnt vmcnt(2)
	v_add_f64 v[30:31], v[13:14], v[1:2]
	v_add_f64 v[36:37], v[15:16], v[3:4]
	s_waitcnt vmcnt(1)
	v_add_f64 v[38:39], v[1:2], v[17:18]
	v_add_f64 v[40:41], v[3:4], -v[19:20]
	s_waitcnt vmcnt(0)
	v_fma_f64 v[26:27], v[26:27], -0.5, v[23:24]
	v_fma_f64 v[28:29], v[28:29], -0.5, v[21:22]
	v_add_f64 v[5:6], v[21:22], v[5:6]
	v_add_f64 v[7:8], v[23:24], v[7:8]
	;; [unrolled: 1-line block ×3, first 2 shown]
	v_add_f64 v[21:22], v[1:2], -v[17:18]
	v_add_f64 v[17:18], v[30:31], v[17:18]
	v_add_f64 v[19:20], v[36:37], v[19:20]
	v_fma_f64 v[23:24], v[45:46], s[6:7], v[26:27]
	v_fma_f64 v[30:31], v[42:43], s[4:5], v[28:29]
	v_add_f64 v[5:6], v[5:6], v[9:10]
	v_add_f64 v[7:8], v[7:8], v[11:12]
	v_fma_f64 v[9:10], v[42:43], s[6:7], v[28:29]
	v_fma_f64 v[11:12], v[45:46], s[4:5], v[26:27]
	v_fma_f64 v[13:14], v[38:39], -0.5, v[13:14]
	v_fma_f64 v[15:16], v[3:4], -0.5, v[15:16]
	v_mul_f64 v[26:27], v[23:24], s[4:5]
	v_mul_f64 v[28:29], v[30:31], s[6:7]
	v_add_f64 v[1:2], v[17:18], v[5:6]
	v_add_f64 v[3:4], v[19:20], v[7:8]
	v_mul_f64 v[36:37], v[9:10], -0.5
	v_mul_f64 v[38:39], v[11:12], -0.5
	v_fma_f64 v[42:43], v[40:41], s[4:5], v[13:14]
	v_fma_f64 v[45:46], v[21:22], s[6:7], v[15:16]
	v_fma_f64 v[26:27], v[30:31], 0.5, v[26:27]
	v_fma_f64 v[23:24], v[23:24], 0.5, v[28:29]
	v_fma_f64 v[28:29], v[40:41], s[6:7], v[13:14]
	v_fma_f64 v[30:31], v[21:22], s[4:5], v[15:16]
	;; [unrolled: 1-line block ×4, first 2 shown]
	v_add_f64 v[13:14], v[17:18], -v[5:6]
	v_add_f64 v[15:16], v[19:20], -v[7:8]
	v_add_f64 v[9:10], v[42:43], v[26:27]
	v_add_f64 v[11:12], v[45:46], v[23:24]
	v_add_f64 v[5:6], v[42:43], -v[26:27]
	v_add_f64 v[7:8], v[45:46], -v[23:24]
	v_add_f64 v[17:18], v[28:29], v[21:22]
	v_add_f64 v[19:20], v[30:31], v[36:37]
	v_add_f64 v[21:22], v[28:29], -v[21:22]
	v_add_f64 v[23:24], v[30:31], -v[36:37]
	s_load_dwordx2 s[4:5], s[10:11], 0x0
	v_lshl_add_u32 v26, v44, 4, v25
	v_lshlrev_b32_e32 v29, 4, v44
	ds_write_b128 v26, v[1:4]
	ds_write_b128 v26, v[13:16] offset:288
	ds_write_b128 v26, v[9:12] offset:96
	;; [unrolled: 1-line block ×5, first 2 shown]
	s_waitcnt lgkmcnt(0)
	s_barrier
	s_waitcnt lgkmcnt(0)
                                        ; implicit-def: $vgpr27_vgpr28
	s_and_saveexec_b64 s[6:7], s[2:3]
	s_cbranch_execz .LBB0_16
; %bb.15:
	v_mul_i32_i24_e32 v1, 0xfffffe20, v35
	v_add3_u32 v25, v25, v1, v29
	ds_read_b128 v[1:4], v25
	ds_read_b128 v[9:12], v25 offset:4608
	ds_read_b128 v[17:20], v25 offset:9216
	;; [unrolled: 1-line block ×6, first 2 shown]
.LBB0_16:
	s_or_b64 exec, exec, s[6:7]
	v_mul_hi_u32 v30, v35, s12
	s_mov_b32 s12, 0x37e14327
	s_mov_b32 s6, 0x36b3c0b5
	;; [unrolled: 1-line block ×3, first 2 shown]
	v_mul_u32_u24_e32 v30, 6, v30
	v_sub_u32_e32 v30, v35, v30
	v_mul_u32_u24_e32 v31, 6, v30
	v_lshlrev_b32_e32 v31, 4, v31
	global_load_dwordx4 v[36:39], v31, s[8:9]
	global_load_dwordx4 v[40:43], v31, s[8:9] offset:16
	global_load_dwordx4 v[45:48], v31, s[8:9] offset:32
	;; [unrolled: 1-line block ×5, first 2 shown]
	s_mov_b32 s13, 0x3fe948f6
	s_mov_b32 s7, 0x3fac98ee
	s_mov_b32 s31, 0xbfe11646
	s_mov_b32 s14, 0x429ad128
	s_mov_b32 s15, 0x3febfeb5
	s_mov_b32 s10, 0xaaaaaaaa
	s_mov_b32 s27, 0x3fe77f67
	s_mov_b32 s26, 0x5476071b
	s_mov_b32 s25, 0x3fd5d0dc
	s_mov_b32 s24, 0xb247c609
	s_mov_b32 s11, 0xbff2aaaa
	s_mov_b32 s20, 0x37c3f68c
	s_mov_b32 s21, 0x3fdc38aa
	s_waitcnt vmcnt(0) lgkmcnt(0)
	s_barrier
	v_mul_f64 v[31:32], v[11:12], v[38:39]
	v_mul_f64 v[38:39], v[9:10], v[38:39]
	v_mul_f64 v[61:62], v[19:20], v[42:43]
	v_fma_f64 v[9:10], v[9:10], v[36:37], -v[31:32]
	v_mul_f64 v[31:32], v[17:18], v[42:43]
	v_fma_f64 v[11:12], v[11:12], v[36:37], v[38:39]
	v_mul_f64 v[38:39], v[27:28], v[51:52]
	v_mul_f64 v[36:37], v[15:16], v[47:48]
	v_mul_f64 v[42:43], v[25:26], v[51:52]
	v_fma_f64 v[17:18], v[17:18], v[40:41], -v[61:62]
	v_mul_f64 v[51:52], v[7:8], v[59:60]
	v_fma_f64 v[19:20], v[19:20], v[40:41], v[31:32]
	;; [unrolled: 6-line block ×3, first 2 shown]
	v_fma_f64 v[13:14], v[13:14], v[45:46], -v[36:37]
	v_fma_f64 v[5:6], v[5:6], v[57:58], -v[51:52]
	v_fma_f64 v[15:16], v[15:16], v[45:46], v[31:32]
	v_fma_f64 v[21:22], v[21:22], v[53:54], -v[40:41]
	v_fma_f64 v[23:24], v[23:24], v[53:54], v[47:48]
	v_add_f64 v[31:32], v[9:10], v[25:26]
	v_fma_f64 v[7:8], v[7:8], v[57:58], v[38:39]
	v_add_f64 v[36:37], v[11:12], v[27:28]
	v_add_f64 v[9:10], v[9:10], -v[25:26]
	v_add_f64 v[11:12], v[11:12], -v[27:28]
	v_add_f64 v[25:26], v[17:18], v[21:22]
	v_add_f64 v[27:28], v[19:20], v[23:24]
	v_add_f64 v[17:18], v[17:18], -v[21:22]
	v_add_f64 v[19:20], v[19:20], -v[23:24]
	v_add_f64 v[21:22], v[13:14], v[5:6]
	;; [unrolled: 4-line block ×3, first 2 shown]
	v_add_f64 v[15:16], v[27:28], v[36:37]
	v_add_f64 v[38:39], v[25:26], -v[31:32]
	v_add_f64 v[40:41], v[27:28], -v[36:37]
	;; [unrolled: 1-line block ×5, first 2 shown]
	v_add_f64 v[42:43], v[5:6], v[17:18]
	v_add_f64 v[45:46], v[7:8], v[19:20]
	v_add_f64 v[47:48], v[5:6], -v[17:18]
	v_add_f64 v[49:50], v[7:8], -v[19:20]
	;; [unrolled: 1-line block ×5, first 2 shown]
	v_add_f64 v[13:14], v[21:22], v[13:14]
	v_add_f64 v[15:16], v[23:24], v[15:16]
	v_add_f64 v[5:6], v[9:10], -v[5:6]
	v_add_f64 v[7:8], v[11:12], -v[7:8]
	v_add_f64 v[9:10], v[42:43], v[9:10]
	v_mul_f64 v[21:22], v[31:32], s[12:13]
	v_mul_f64 v[23:24], v[25:26], s[6:7]
	;; [unrolled: 1-line block ×3, first 2 shown]
	v_add_f64 v[11:12], v[45:46], v[11:12]
	v_mul_f64 v[42:43], v[47:48], s[30:31]
	v_mul_f64 v[45:46], v[49:50], s[30:31]
	;; [unrolled: 1-line block ×5, first 2 shown]
	v_add_f64 v[1:2], v[1:2], v[13:14]
	v_add_f64 v[3:4], v[3:4], v[15:16]
	v_fma_f64 v[23:24], v[38:39], s[26:27], -v[23:24]
	v_fma_f64 v[31:32], v[40:41], s[26:27], -v[31:32]
	s_mov_b32 s27, 0xbfe77f67
	v_fma_f64 v[17:18], v[17:18], s[14:15], -v[42:43]
	v_fma_f64 v[42:43], v[5:6], s[24:25], v[42:43]
	v_fma_f64 v[19:20], v[19:20], s[14:15], -v[45:46]
	v_fma_f64 v[45:46], v[7:8], s[24:25], v[45:46]
	s_mov_b32 s25, 0xbfd5d0dc
	v_fma_f64 v[25:26], v[25:26], s[6:7], v[21:22]
	v_fma_f64 v[27:28], v[27:28], s[6:7], v[36:37]
	v_fma_f64 v[21:22], v[38:39], s[26:27], -v[21:22]
	v_fma_f64 v[36:37], v[40:41], s[26:27], -v[36:37]
	;; [unrolled: 1-line block ×4, first 2 shown]
	v_fma_f64 v[13:14], v[13:14], s[10:11], v[1:2]
	v_fma_f64 v[15:16], v[15:16], s[10:11], v[3:4]
	;; [unrolled: 1-line block ×8, first 2 shown]
	v_add_f64 v[25:26], v[25:26], v[13:14]
	v_add_f64 v[27:28], v[27:28], v[15:16]
	;; [unrolled: 1-line block ×7, first 2 shown]
	v_add_f64 v[7:8], v[27:28], -v[38:39]
	v_add_f64 v[9:10], v[47:48], v[21:22]
	v_add_f64 v[11:12], v[36:37], -v[45:46]
	v_add_f64 v[13:14], v[19:20], -v[17:18]
	v_add_f64 v[15:16], v[42:43], v[23:24]
	v_add_f64 v[17:18], v[17:18], v[19:20]
	v_add_f64 v[19:20], v[23:24], -v[42:43]
	v_add_f64 v[21:22], v[21:22], -v[47:48]
	v_add_f64 v[23:24], v[45:46], v[36:37]
	v_add_f64 v[25:26], v[25:26], -v[40:41]
	v_add_f64 v[27:28], v[38:39], v[27:28]
	s_and_saveexec_b64 s[6:7], s[2:3]
	s_cbranch_execz .LBB0_18
; %bb.17:
	v_mul_lo_u16_e32 v31, 43, v35
	v_lshrrev_b16_e32 v31, 8, v31
	v_mad_u32_u24 v30, v31, 42, v30
	v_mul_i32_i24_e32 v30, 0x60, v30
	v_add3_u32 v30, 0, v30, v29
	ds_write_b128 v30, v[1:4]
	ds_write_b128 v30, v[5:8] offset:576
	ds_write_b128 v30, v[9:12] offset:1152
	;; [unrolled: 1-line block ×6, first 2 shown]
.LBB0_18:
	s_or_b64 exec, exec, s[6:7]
	s_movk_i32 s5, 0xfc
	v_cmp_gt_u32_e64 s[2:3], s5, v0
	s_waitcnt lgkmcnt(0)
	s_barrier
	s_waitcnt lgkmcnt(0)
                                        ; implicit-def: $vgpr31_vgpr32
	s_and_saveexec_b64 s[6:7], s[2:3]
	s_cbranch_execz .LBB0_20
; %bb.19:
	v_mul_u32_u24_e32 v1, 0x60, v35
	v_add3_u32 v29, 0, v1, v29
	ds_read_b128 v[1:4], v29
	ds_read_b128 v[5:8], v29 offset:4032
	ds_read_b128 v[9:12], v29 offset:8064
	;; [unrolled: 1-line block ×7, first 2 shown]
.LBB0_20:
	s_or_b64 exec, exec, s[6:7]
	s_mov_b32 s2, 0x6186187
	v_mul_hi_u32 v34, v35, s2
	s_mov_b32 s2, 0x667f3bcd
	s_mov_b32 s3, 0xbfe6a09e
	s_mul_i32 s6, s4, s28
	v_mul_u32_u24_e32 v34, 42, v34
	v_sub_u32_e32 v45, v35, v34
	v_mul_u32_u24_e32 v34, 7, v45
	v_lshlrev_b32_e32 v54, 4, v34
	global_load_dwordx4 v[34:37], v54, s[8:9] offset:624
	global_load_dwordx4 v[38:41], v54, s[8:9] offset:608
	;; [unrolled: 1-line block ×4, first 2 shown]
	s_movk_i32 s4, 0xfb
	s_add_i32 s6, s6, s17
	s_waitcnt vmcnt(0) lgkmcnt(6)
	v_mul_f64 v[42:43], v[7:8], v[52:53]
	v_fma_f64 v[42:43], v[5:6], v[50:51], -v[42:43]
	v_mul_f64 v[5:6], v[5:6], v[52:53]
	v_fma_f64 v[50:51], v[7:8], v[50:51], v[5:6]
	s_waitcnt lgkmcnt(5)
	v_mul_f64 v[5:6], v[11:12], v[48:49]
	v_fma_f64 v[52:53], v[9:10], v[46:47], -v[5:6]
	v_mul_f64 v[5:6], v[9:10], v[48:49]
	v_fma_f64 v[46:47], v[11:12], v[46:47], v[5:6]
	s_waitcnt lgkmcnt(4)
	;; [unrolled: 5-line block ×3, first 2 shown]
	v_mul_f64 v[5:6], v[19:20], v[36:37]
	v_fma_f64 v[40:41], v[17:18], v[34:35], -v[5:6]
	v_mul_f64 v[5:6], v[17:18], v[36:37]
	v_fma_f64 v[17:18], v[19:20], v[34:35], v[5:6]
	global_load_dwordx4 v[5:8], v54, s[8:9] offset:672
	global_load_dwordx4 v[9:12], v54, s[8:9] offset:656
	;; [unrolled: 1-line block ×3, first 2 shown]
	s_mov_b32 s9, 0x3fe6a09e
	s_mov_b32 s8, s2
	v_add_f64 v[17:18], v[3:4], -v[17:18]
	v_fma_f64 v[3:4], v[3:4], 2.0, -v[17:18]
	s_waitcnt vmcnt(0) lgkmcnt(2)
	v_mul_f64 v[19:20], v[23:24], v[15:16]
	v_mul_f64 v[15:16], v[21:22], v[15:16]
	v_fma_f64 v[19:20], v[21:22], v[13:14], -v[19:20]
	v_fma_f64 v[13:14], v[23:24], v[13:14], v[15:16]
	s_waitcnt lgkmcnt(1)
	v_mul_f64 v[15:16], v[27:28], v[11:12]
	v_mul_f64 v[11:12], v[25:26], v[11:12]
	v_add_f64 v[19:20], v[42:43], -v[19:20]
	v_add_f64 v[13:14], v[50:51], -v[13:14]
	v_fma_f64 v[15:16], v[25:26], v[9:10], -v[15:16]
	v_fma_f64 v[9:10], v[27:28], v[9:10], v[11:12]
	s_waitcnt lgkmcnt(0)
	v_mul_f64 v[11:12], v[31:32], v[7:8]
	v_mul_f64 v[7:8], v[29:30], v[7:8]
	v_fma_f64 v[25:26], v[42:43], 2.0, -v[19:20]
	v_fma_f64 v[27:28], v[50:51], 2.0, -v[13:14]
	v_add_f64 v[15:16], v[52:53], -v[15:16]
	v_add_f64 v[9:10], v[46:47], -v[9:10]
	v_fma_f64 v[11:12], v[29:30], v[5:6], -v[11:12]
	v_fma_f64 v[5:6], v[31:32], v[5:6], v[7:8]
	v_add_f64 v[7:8], v[1:2], -v[40:41]
	v_mul_lo_u32 v50, v45, v33
	v_fma_f64 v[21:22], v[52:53], 2.0, -v[15:16]
	v_fma_f64 v[23:24], v[46:47], 2.0, -v[9:10]
	v_add_f64 v[11:12], v[48:49], -v[11:12]
	v_add_f64 v[5:6], v[38:39], -v[5:6]
	v_fma_f64 v[1:2], v[1:2], 2.0, -v[7:8]
	v_add_f64 v[40:41], v[17:18], v[15:16]
	v_add_f64 v[36:37], v[3:4], -v[23:24]
	v_fma_f64 v[29:30], v[48:49], 2.0, -v[11:12]
	v_fma_f64 v[31:32], v[38:39], 2.0, -v[5:6]
	v_add_f64 v[34:35], v[1:2], -v[21:22]
	v_add_f64 v[38:39], v[7:8], -v[9:10]
	v_fma_f64 v[9:10], v[17:18], 2.0, -v[40:41]
	v_add_f64 v[42:43], v[13:14], v[11:12]
	v_fma_f64 v[23:24], v[3:4], 2.0, -v[36:37]
	v_add_f64 v[15:16], v[25:26], -v[29:30]
	v_add_f64 v[17:18], v[27:28], -v[31:32]
	v_fma_f64 v[1:2], v[1:2], 2.0, -v[34:35]
	v_add_f64 v[31:32], v[19:20], -v[5:6]
	v_fma_f64 v[7:8], v[7:8], 2.0, -v[38:39]
	v_fma_f64 v[13:14], v[13:14], 2.0, -v[42:43]
	v_fma_f64 v[3:4], v[25:26], 2.0, -v[15:16]
	v_fma_f64 v[21:22], v[27:28], 2.0, -v[17:18]
	v_add_f64 v[27:28], v[34:35], -v[17:18]
	v_fma_f64 v[11:12], v[19:20], 2.0, -v[31:32]
	v_add_f64 v[29:30], v[36:37], v[15:16]
	v_fma_f64 v[25:26], v[13:14], s[2:3], v[9:10]
	v_fma_f64 v[15:16], v[42:43], s[8:9], v[40:41]
	v_add_f64 v[19:20], v[1:2], -v[3:4]
	v_add_f64 v[21:22], v[23:24], -v[21:22]
	v_fma_f64 v[25:26], v[11:12], s[8:9], v[25:26]
	v_fma_f64 v[3:4], v[1:2], 2.0, -v[19:20]
	v_fma_f64 v[1:2], v[11:12], s[2:3], v[7:8]
	v_fma_f64 v[5:6], v[23:24], 2.0, -v[21:22]
	v_fma_f64 v[11:12], v[34:35], 2.0, -v[27:28]
	v_fma_f64 v[9:10], v[9:10], 2.0, -v[25:26]
	v_fma_f64 v[23:24], v[13:14], s[2:3], v[1:2]
	v_fma_f64 v[1:2], v[31:32], s[8:9], v[38:39]
	v_fma_f64 v[13:14], v[36:37], 2.0, -v[29:30]
	v_fma_f64 v[36:37], v[31:32], s[8:9], v[15:16]
	v_fma_f64 v[7:8], v[7:8], 2.0, -v[23:24]
	v_fma_f64 v[34:35], v[42:43], s[2:3], v[1:2]
	v_and_b32_e32 v1, 31, v50
	v_lshl_add_u32 v1, v1, 4, 0
	v_fma_f64 v[17:18], v[40:41], 2.0, -v[36:37]
	s_add_i32 s2, 0, 0x7e00
	v_fma_f64 v[15:16], v[38:39], 2.0, -v[34:35]
	ds_read_b128 v[38:41], v1 offset:32256
	v_lshrrev_b32_e32 v1, 1, v50
	v_and_b32_e32 v1, 0x1f0, v1
	v_add_u32_e32 v1, s2, v1
	ds_read_b128 v[46:49], v1 offset:512
	s_waitcnt lgkmcnt(0)
	v_mul_f64 v[1:2], v[40:41], v[48:49]
	v_mul_f64 v[31:32], v[38:39], v[48:49]
	v_fma_f64 v[1:2], v[38:39], v[46:47], -v[1:2]
	v_fma_f64 v[31:32], v[40:41], v[46:47], v[31:32]
	v_lshrrev_b32_e32 v38, 6, v50
	v_and_b32_e32 v38, 0x1f0, v38
	v_add_u32_e32 v38, s2, v38
	ds_read_b128 v[38:41], v38 offset:1024
	s_waitcnt lgkmcnt(0)
	v_mul_f64 v[42:43], v[31:32], v[40:41]
	v_fma_f64 v[42:43], v[38:39], v[1:2], -v[42:43]
	v_mul_f64 v[1:2], v[1:2], v[40:41]
	v_fma_f64 v[31:32], v[38:39], v[31:32], v[1:2]
	v_mul_f64 v[1:2], v[5:6], v[31:32]
	v_fma_f64 v[1:2], v[3:4], v[42:43], -v[1:2]
	v_mul_f64 v[3:4], v[3:4], v[31:32]
	v_mul_lo_u32 v31, v33, 42
	v_add_u32_e32 v50, v50, v31
	v_fma_f64 v[3:4], v[5:6], v[42:43], v[3:4]
	v_and_b32_e32 v5, 31, v50
	v_lshl_add_u32 v5, v5, 4, 0
	ds_read_b128 v[38:41], v5 offset:32256
	v_lshrrev_b32_e32 v5, 1, v50
	v_and_b32_e32 v5, 0x1f0, v5
	v_add_u32_e32 v5, s2, v5
	ds_read_b128 v[46:49], v5 offset:512
	s_waitcnt lgkmcnt(0)
	v_mul_f64 v[5:6], v[40:41], v[48:49]
	v_mul_f64 v[32:33], v[38:39], v[48:49]
	v_fma_f64 v[5:6], v[38:39], v[46:47], -v[5:6]
	v_fma_f64 v[32:33], v[40:41], v[46:47], v[32:33]
	v_lshrrev_b32_e32 v38, 6, v50
	v_and_b32_e32 v38, 0x1f0, v38
	v_add_u32_e32 v38, s2, v38
	ds_read_b128 v[38:41], v38 offset:1024
	v_add_u32_e32 v50, v50, v31
	s_waitcnt lgkmcnt(0)
	v_mul_f64 v[42:43], v[32:33], v[40:41]
	v_fma_f64 v[42:43], v[38:39], v[5:6], -v[42:43]
	v_mul_f64 v[5:6], v[5:6], v[40:41]
	v_fma_f64 v[32:33], v[38:39], v[32:33], v[5:6]
	v_mul_f64 v[5:6], v[9:10], v[32:33]
	v_fma_f64 v[5:6], v[7:8], v[42:43], -v[5:6]
	v_mul_f64 v[7:8], v[7:8], v[32:33]
	v_fma_f64 v[7:8], v[9:10], v[42:43], v[7:8]
	v_and_b32_e32 v9, 31, v50
	v_lshl_add_u32 v9, v9, 4, 0
	ds_read_b128 v[38:41], v9 offset:32256
	v_lshrrev_b32_e32 v9, 1, v50
	v_and_b32_e32 v9, 0x1f0, v9
	v_add_u32_e32 v9, s2, v9
	ds_read_b128 v[46:49], v9 offset:512
	s_waitcnt lgkmcnt(0)
	v_mul_f64 v[9:10], v[40:41], v[48:49]
	v_mul_f64 v[32:33], v[38:39], v[48:49]
	v_fma_f64 v[9:10], v[38:39], v[46:47], -v[9:10]
	v_fma_f64 v[32:33], v[40:41], v[46:47], v[32:33]
	v_lshrrev_b32_e32 v38, 6, v50
	v_and_b32_e32 v38, 0x1f0, v38
	v_add_u32_e32 v38, s2, v38
	ds_read_b128 v[38:41], v38 offset:1024
	v_add_u32_e32 v50, v50, v31
	s_waitcnt lgkmcnt(0)
	v_mul_f64 v[42:43], v[32:33], v[40:41]
	v_fma_f64 v[42:43], v[38:39], v[9:10], -v[42:43]
	v_mul_f64 v[9:10], v[9:10], v[40:41]
	v_fma_f64 v[32:33], v[38:39], v[32:33], v[9:10]
	v_mul_f64 v[9:10], v[13:14], v[32:33]
	v_fma_f64 v[9:10], v[11:12], v[42:43], -v[9:10]
	v_mul_f64 v[11:12], v[11:12], v[32:33]
	;; [unrolled: 26-line block ×5, first 2 shown]
	v_fma_f64 v[23:24], v[25:26], v[42:43], v[23:24]
	v_and_b32_e32 v25, 31, v50
	v_lshl_add_u32 v25, v25, 4, 0
	ds_read_b128 v[38:41], v25 offset:32256
	v_lshrrev_b32_e32 v25, 1, v50
	v_and_b32_e32 v25, 0x1f0, v25
	v_add_u32_e32 v25, s2, v25
	ds_read_b128 v[46:49], v25 offset:512
	s_waitcnt lgkmcnt(0)
	v_mul_f64 v[25:26], v[40:41], v[48:49]
	v_mul_f64 v[32:33], v[38:39], v[48:49]
	v_fma_f64 v[25:26], v[38:39], v[46:47], -v[25:26]
	v_fma_f64 v[32:33], v[40:41], v[46:47], v[32:33]
	v_lshrrev_b32_e32 v38, 6, v50
	v_and_b32_e32 v38, 0x1f0, v38
	v_add_u32_e32 v38, s2, v38
	ds_read_b128 v[38:41], v38 offset:1024
	s_waitcnt lgkmcnt(0)
	v_mul_f64 v[42:43], v[32:33], v[40:41]
	v_fma_f64 v[42:43], v[38:39], v[25:26], -v[42:43]
	v_mul_f64 v[25:26], v[25:26], v[40:41]
	v_fma_f64 v[32:33], v[38:39], v[32:33], v[25:26]
	v_mul_f64 v[25:26], v[29:30], v[32:33]
	v_fma_f64 v[25:26], v[27:28], v[42:43], -v[25:26]
	v_mul_f64 v[27:28], v[27:28], v[32:33]
	v_add_u32_e32 v33, v50, v31
	v_lshrrev_b32_e32 v38, 1, v33
	v_and_b32_e32 v38, 0x1f0, v38
	v_add_u32_e32 v38, s2, v38
	ds_read_b128 v[38:41], v38 offset:512
	v_fma_f64 v[27:28], v[29:30], v[42:43], v[27:28]
	v_and_b32_e32 v29, 31, v33
	v_lshl_add_u32 v29, v29, 4, 0
	ds_read_b128 v[29:32], v29 offset:32256
	s_waitcnt lgkmcnt(0)
	v_mul_f64 v[42:43], v[31:32], v[40:41]
	v_fma_f64 v[42:43], v[29:30], v[38:39], -v[42:43]
	v_mul_f64 v[29:30], v[29:30], v[40:41]
	v_fma_f64 v[38:39], v[31:32], v[38:39], v[29:30]
	v_lshrrev_b32_e32 v29, 6, v33
	v_and_b32_e32 v29, 0x1f0, v29
	v_add_u32_e32 v29, s2, v29
	ds_read_b128 v[29:32], v29 offset:1024
	s_mov_b32 s2, 0x1041042
	v_mul_lo_u32 v33, s18, v44
	s_waitcnt lgkmcnt(0)
	v_mul_f64 v[40:41], v[38:39], v[31:32]
	v_mul_f64 v[31:32], v[42:43], v[31:32]
	v_fma_f64 v[40:41], v[29:30], v[42:43], -v[40:41]
	v_fma_f64 v[31:32], v[29:30], v[38:39], v[31:32]
	v_mul_f64 v[29:30], v[36:37], v[31:32]
	v_mul_f64 v[31:32], v[34:35], v[31:32]
	v_fma_f64 v[29:30], v[34:35], v[40:41], -v[29:30]
	v_mul_hi_u32 v34, v0, s2
	s_movk_i32 s2, 0x150
	v_fma_f64 v[31:32], v[36:37], v[40:41], v[31:32]
	v_cndmask_b32_e64 v36, 0, 1, vcc
	v_mad_u32_u24 v34, v34, s2, v45
	v_mul_lo_u32 v35, s16, v34
	v_cmp_gt_u32_e64 s[2:3], s5, v0
	v_cmp_lt_u32_e64 s[4:5], s4, v0
	s_or_b64 s[0:1], s[4:5], s[0:1]
	v_cndmask_b32_e64 v0, 0, 1, s[2:3]
	v_cndmask_b32_e64 v0, v36, v0, s[0:1]
	v_and_b32_e32 v0, 1, v0
	v_cmp_eq_u32_e32 vcc, 1, v0
	v_add_lshl_u32 v0, v33, v35, 4
	s_lshl_b32 s4, s6, 4
	v_cndmask_b32_e32 v0, -1, v0, vcc
	s_mov_b32 s3, 0x20000
	s_mov_b32 s2, -2
	s_mov_b32 s0, s22
	s_mov_b32 s1, s23
	buffer_store_dwordx4 v[1:4], v0, s[0:3], s4 offen
	v_add_u32_e32 v0, 42, v34
	v_mul_lo_u32 v0, s16, v0
	v_add_lshl_u32 v0, v33, v0, 4
	v_cndmask_b32_e32 v0, -1, v0, vcc
	buffer_store_dwordx4 v[5:8], v0, s[0:3], s4 offen
	v_add_u32_e32 v0, 0x54, v34
	v_mul_lo_u32 v0, s16, v0
	v_add_lshl_u32 v0, v33, v0, 4
	v_cndmask_b32_e32 v0, -1, v0, vcc
	buffer_store_dwordx4 v[9:12], v0, s[0:3], s4 offen
	v_add_u32_e32 v0, 0x7e, v34
	v_mul_lo_u32 v0, s16, v0
	v_add_lshl_u32 v0, v33, v0, 4
	v_cndmask_b32_e32 v0, -1, v0, vcc
	buffer_store_dwordx4 v[13:16], v0, s[0:3], s4 offen
	v_add_u32_e32 v0, 0xa8, v34
	v_mul_lo_u32 v0, s16, v0
	v_add_lshl_u32 v0, v33, v0, 4
	v_cndmask_b32_e32 v0, -1, v0, vcc
	buffer_store_dwordx4 v[17:20], v0, s[0:3], s4 offen
	v_add_u32_e32 v0, 0xd2, v34
	v_mul_lo_u32 v0, s16, v0
	v_add_lshl_u32 v0, v33, v0, 4
	v_cndmask_b32_e32 v0, -1, v0, vcc
	buffer_store_dwordx4 v[21:24], v0, s[0:3], s4 offen
	v_add_u32_e32 v0, 0xfc, v34
	v_mul_lo_u32 v0, s16, v0
	v_add_lshl_u32 v0, v33, v0, 4
	v_cndmask_b32_e32 v0, -1, v0, vcc
	buffer_store_dwordx4 v[25:28], v0, s[0:3], s4 offen
	v_add_u32_e32 v0, 0x126, v34
	v_mul_lo_u32 v0, s16, v0
	v_add_lshl_u32 v0, v33, v0, 4
	v_cndmask_b32_e32 v0, -1, v0, vcc
	buffer_store_dwordx4 v[29:32], v0, s[0:3], s4 offen
	s_endpgm
	.section	.rodata,"a",@progbits
	.p2align	6, 0x0
	.amdhsa_kernel fft_rtc_fwd_len336_factors_6_7_8_wgs_336_tpt_56_dp_op_CI_CI_sbcc_twdbase5_3step_dirReg_intrinsicReadWrite
		.amdhsa_group_segment_fixed_size 0
		.amdhsa_private_segment_fixed_size 0
		.amdhsa_kernarg_size 112
		.amdhsa_user_sgpr_count 6
		.amdhsa_user_sgpr_private_segment_buffer 1
		.amdhsa_user_sgpr_dispatch_ptr 0
		.amdhsa_user_sgpr_queue_ptr 0
		.amdhsa_user_sgpr_kernarg_segment_ptr 1
		.amdhsa_user_sgpr_dispatch_id 0
		.amdhsa_user_sgpr_flat_scratch_init 0
		.amdhsa_user_sgpr_private_segment_size 0
		.amdhsa_uses_dynamic_stack 0
		.amdhsa_system_sgpr_private_segment_wavefront_offset 0
		.amdhsa_system_sgpr_workgroup_id_x 1
		.amdhsa_system_sgpr_workgroup_id_y 0
		.amdhsa_system_sgpr_workgroup_id_z 0
		.amdhsa_system_sgpr_workgroup_info 0
		.amdhsa_system_vgpr_workitem_id 0
		.amdhsa_next_free_vgpr 63
		.amdhsa_next_free_sgpr 51
		.amdhsa_reserve_vcc 1
		.amdhsa_reserve_flat_scratch 0
		.amdhsa_float_round_mode_32 0
		.amdhsa_float_round_mode_16_64 0
		.amdhsa_float_denorm_mode_32 3
		.amdhsa_float_denorm_mode_16_64 3
		.amdhsa_dx10_clamp 1
		.amdhsa_ieee_mode 1
		.amdhsa_fp16_overflow 0
		.amdhsa_exception_fp_ieee_invalid_op 0
		.amdhsa_exception_fp_denorm_src 0
		.amdhsa_exception_fp_ieee_div_zero 0
		.amdhsa_exception_fp_ieee_overflow 0
		.amdhsa_exception_fp_ieee_underflow 0
		.amdhsa_exception_fp_ieee_inexact 0
		.amdhsa_exception_int_div_zero 0
	.end_amdhsa_kernel
	.text
.Lfunc_end0:
	.size	fft_rtc_fwd_len336_factors_6_7_8_wgs_336_tpt_56_dp_op_CI_CI_sbcc_twdbase5_3step_dirReg_intrinsicReadWrite, .Lfunc_end0-fft_rtc_fwd_len336_factors_6_7_8_wgs_336_tpt_56_dp_op_CI_CI_sbcc_twdbase5_3step_dirReg_intrinsicReadWrite
                                        ; -- End function
	.section	.AMDGPU.csdata,"",@progbits
; Kernel info:
; codeLenInByte = 6476
; NumSgprs: 55
; NumVgprs: 63
; ScratchSize: 0
; MemoryBound: 0
; FloatMode: 240
; IeeeMode: 1
; LDSByteSize: 0 bytes/workgroup (compile time only)
; SGPRBlocks: 6
; VGPRBlocks: 15
; NumSGPRsForWavesPerEU: 55
; NumVGPRsForWavesPerEU: 63
; Occupancy: 4
; WaveLimiterHint : 0
; COMPUTE_PGM_RSRC2:SCRATCH_EN: 0
; COMPUTE_PGM_RSRC2:USER_SGPR: 6
; COMPUTE_PGM_RSRC2:TRAP_HANDLER: 0
; COMPUTE_PGM_RSRC2:TGID_X_EN: 1
; COMPUTE_PGM_RSRC2:TGID_Y_EN: 0
; COMPUTE_PGM_RSRC2:TGID_Z_EN: 0
; COMPUTE_PGM_RSRC2:TIDIG_COMP_CNT: 0
	.type	__hip_cuid_9c35d9adf419870a,@object ; @__hip_cuid_9c35d9adf419870a
	.section	.bss,"aw",@nobits
	.globl	__hip_cuid_9c35d9adf419870a
__hip_cuid_9c35d9adf419870a:
	.byte	0                               ; 0x0
	.size	__hip_cuid_9c35d9adf419870a, 1

	.ident	"AMD clang version 19.0.0git (https://github.com/RadeonOpenCompute/llvm-project roc-6.4.0 25133 c7fe45cf4b819c5991fe208aaa96edf142730f1d)"
	.section	".note.GNU-stack","",@progbits
	.addrsig
	.addrsig_sym __hip_cuid_9c35d9adf419870a
	.amdgpu_metadata
---
amdhsa.kernels:
  - .args:
      - .actual_access:  read_only
        .address_space:  global
        .offset:         0
        .size:           8
        .value_kind:     global_buffer
      - .address_space:  global
        .offset:         8
        .size:           8
        .value_kind:     global_buffer
      - .offset:         16
        .size:           8
        .value_kind:     by_value
      - .actual_access:  read_only
        .address_space:  global
        .offset:         24
        .size:           8
        .value_kind:     global_buffer
      - .actual_access:  read_only
        .address_space:  global
        .offset:         32
        .size:           8
        .value_kind:     global_buffer
      - .actual_access:  read_only
        .address_space:  global
        .offset:         40
        .size:           8
        .value_kind:     global_buffer
      - .offset:         48
        .size:           8
        .value_kind:     by_value
      - .actual_access:  read_only
        .address_space:  global
        .offset:         56
        .size:           8
        .value_kind:     global_buffer
      - .actual_access:  read_only
        .address_space:  global
        .offset:         64
        .size:           8
        .value_kind:     global_buffer
      - .offset:         72
        .size:           4
        .value_kind:     by_value
      - .actual_access:  read_only
        .address_space:  global
        .offset:         80
        .size:           8
        .value_kind:     global_buffer
      - .actual_access:  read_only
        .address_space:  global
        .offset:         88
        .size:           8
        .value_kind:     global_buffer
      - .address_space:  global
        .offset:         96
        .size:           8
        .value_kind:     global_buffer
      - .address_space:  global
        .offset:         104
        .size:           8
        .value_kind:     global_buffer
    .group_segment_fixed_size: 0
    .kernarg_segment_align: 8
    .kernarg_segment_size: 112
    .language:       OpenCL C
    .language_version:
      - 2
      - 0
    .max_flat_workgroup_size: 336
    .name:           fft_rtc_fwd_len336_factors_6_7_8_wgs_336_tpt_56_dp_op_CI_CI_sbcc_twdbase5_3step_dirReg_intrinsicReadWrite
    .private_segment_fixed_size: 0
    .sgpr_count:     55
    .sgpr_spill_count: 0
    .symbol:         fft_rtc_fwd_len336_factors_6_7_8_wgs_336_tpt_56_dp_op_CI_CI_sbcc_twdbase5_3step_dirReg_intrinsicReadWrite.kd
    .uniform_work_group_size: 1
    .uses_dynamic_stack: false
    .vgpr_count:     63
    .vgpr_spill_count: 0
    .wavefront_size: 64
amdhsa.target:   amdgcn-amd-amdhsa--gfx906
amdhsa.version:
  - 1
  - 2
...

	.end_amdgpu_metadata
